;; amdgpu-corpus repo=ROCm/rocFFT kind=compiled arch=gfx906 opt=O3
	.text
	.amdgcn_target "amdgcn-amd-amdhsa--gfx906"
	.amdhsa_code_object_version 6
	.protected	fft_rtc_fwd_len343_factors_7_7_7_wgs_245_tpt_49_sp_ip_CI_sbcc_twdbase5_3step_dirReg_intrinsicReadWrite ; -- Begin function fft_rtc_fwd_len343_factors_7_7_7_wgs_245_tpt_49_sp_ip_CI_sbcc_twdbase5_3step_dirReg_intrinsicReadWrite
	.globl	fft_rtc_fwd_len343_factors_7_7_7_wgs_245_tpt_49_sp_ip_CI_sbcc_twdbase5_3step_dirReg_intrinsicReadWrite
	.p2align	8
	.type	fft_rtc_fwd_len343_factors_7_7_7_wgs_245_tpt_49_sp_ip_CI_sbcc_twdbase5_3step_dirReg_intrinsicReadWrite,@function
fft_rtc_fwd_len343_factors_7_7_7_wgs_245_tpt_49_sp_ip_CI_sbcc_twdbase5_3step_dirReg_intrinsicReadWrite: ; @fft_rtc_fwd_len343_factors_7_7_7_wgs_245_tpt_49_sp_ip_CI_sbcc_twdbase5_3step_dirReg_intrinsicReadWrite
; %bb.0:
	s_load_dwordx8 s[8:15], s[4:5], 0x8
	s_movk_i32 s0, 0x60
	v_cmp_gt_u32_e32 vcc, s0, v0
	s_and_saveexec_b64 s[0:1], vcc
	s_cbranch_execz .LBB0_2
; %bb.1:
	v_lshlrev_b32_e32 v3, 3, v0
	s_waitcnt lgkmcnt(0)
	global_load_dwordx2 v[1:2], v3, s[8:9]
	v_add_u32_e32 v3, 0, v3
	s_waitcnt vmcnt(0)
	ds_write_b64 v3, v[1:2] offset:13720
.LBB0_2:
	s_or_b64 exec, exec, s[0:1]
	s_waitcnt lgkmcnt(0)
	s_load_dwordx2 s[20:21], s[12:13], 0x8
	s_mov_b32 s7, 0
	s_mov_b64 s[24:25], 0
	s_waitcnt lgkmcnt(0)
	s_add_u32 s0, s20, -1
	s_addc_u32 s1, s21, -1
	s_add_u32 s2, 0, 0x3330c000
	s_addc_u32 s3, 0, 0xb3
	s_mul_hi_u32 s9, s2, -5
	s_add_i32 s3, s3, 0x33333280
	s_sub_i32 s9, s9, s2
	s_mul_i32 s18, s3, -5
	s_mul_i32 s8, s2, -5
	s_add_i32 s9, s9, s18
	s_mul_hi_u32 s16, s3, s8
	s_mul_i32 s17, s3, s8
	s_mul_i32 s19, s2, s9
	s_mul_hi_u32 s8, s2, s8
	s_mul_hi_u32 s18, s2, s9
	s_add_u32 s8, s8, s19
	s_addc_u32 s18, 0, s18
	s_add_u32 s8, s8, s17
	s_mul_hi_u32 s19, s3, s9
	s_addc_u32 s8, s18, s16
	s_addc_u32 s16, s19, 0
	s_mul_i32 s9, s3, s9
	s_add_u32 s8, s8, s9
	v_mov_b32_e32 v1, s8
	s_addc_u32 s9, 0, s16
	v_add_co_u32_e32 v1, vcc, s2, v1
	s_cmp_lg_u64 vcc, 0
	s_addc_u32 s2, s3, s9
	v_readfirstlane_b32 s9, v1
	s_mul_i32 s8, s0, s2
	s_mul_hi_u32 s16, s0, s9
	s_mul_hi_u32 s3, s0, s2
	s_add_u32 s8, s16, s8
	s_addc_u32 s3, 0, s3
	s_mul_hi_u32 s17, s1, s9
	s_mul_i32 s9, s1, s9
	s_add_u32 s8, s8, s9
	s_mul_hi_u32 s16, s1, s2
	s_addc_u32 s3, s3, s17
	s_addc_u32 s8, s16, 0
	s_mul_i32 s2, s1, s2
	s_add_u32 s2, s3, s2
	s_addc_u32 s3, 0, s8
	s_add_u32 s8, s2, 1
	s_addc_u32 s9, s3, 0
	s_add_u32 s16, s2, 2
	s_mul_i32 s18, s3, 5
	s_mul_hi_u32 s19, s2, 5
	s_addc_u32 s17, s3, 0
	s_add_i32 s19, s19, s18
	s_mul_i32 s18, s2, 5
	v_mov_b32_e32 v1, s18
	v_sub_co_u32_e32 v1, vcc, s0, v1
	s_cmp_lg_u64 vcc, 0
	s_subb_u32 s0, s1, s19
	v_subrev_co_u32_e32 v2, vcc, 5, v1
	s_cmp_lg_u64 vcc, 0
	s_subb_u32 s1, s0, 0
	v_readfirstlane_b32 s18, v2
	s_cmp_gt_u32 s18, 4
	s_cselect_b32 s18, -1, 0
	s_cmp_eq_u32 s1, 0
	s_cselect_b32 s1, s18, -1
	s_cmp_lg_u32 s1, 0
	s_cselect_b32 s1, s16, s8
	s_cselect_b32 s8, s17, s9
	v_readfirstlane_b32 s9, v1
	s_cmp_gt_u32 s9, 4
	s_cselect_b32 s9, -1, 0
	s_cmp_eq_u32 s0, 0
	s_cselect_b32 s0, s9, -1
	s_cmp_lg_u32 s0, 0
	s_cselect_b32 s1, s1, s2
	s_cselect_b32 s0, s8, s3
	s_add_u32 s22, s1, 1
	s_addc_u32 s23, s0, 0
	v_mov_b32_e32 v1, s22
	v_mov_b32_e32 v2, s23
	v_cmp_lt_u64_e32 vcc, s[6:7], v[1:2]
	s_cbranch_vccnz .LBB0_4
; %bb.3:
	v_cvt_f32_u32_e32 v1, s22
	s_sub_i32 s0, 0, s22
	s_mov_b32 s25, s7
	v_rcp_iflag_f32_e32 v1, v1
	v_mul_f32_e32 v1, 0x4f7ffffe, v1
	v_cvt_u32_f32_e32 v1, v1
	v_readfirstlane_b32 s1, v1
	s_mul_i32 s0, s0, s1
	s_mul_hi_u32 s0, s1, s0
	s_add_i32 s1, s1, s0
	s_mul_hi_u32 s0, s6, s1
	s_mul_i32 s2, s0, s22
	s_sub_i32 s2, s6, s2
	s_add_i32 s1, s0, 1
	s_sub_i32 s3, s2, s22
	s_cmp_ge_u32 s2, s22
	s_cselect_b32 s0, s1, s0
	s_cselect_b32 s2, s3, s2
	s_add_i32 s1, s0, 1
	s_cmp_ge_u32 s2, s22
	s_cselect_b32 s24, s1, s0
.LBB0_4:
	s_mul_i32 s0, s24, s23
	s_mul_hi_u32 s1, s24, s22
	s_load_dwordx2 s[8:9], s[4:5], 0x58
	s_load_dwordx2 s[2:3], s[4:5], 0x0
	s_load_dwordx4 s[16:19], s[14:15], 0x0
	s_add_i32 s1, s1, s0
	s_mul_i32 s0, s24, s22
	s_sub_u32 s33, s6, s0
	s_subb_u32 s0, 0, s1
	s_mul_i32 s0, s0, 5
	s_waitcnt lgkmcnt(0)
	s_mul_hi_u32 s17, s33, 5
	s_add_i32 s17, s17, s0
	s_mul_i32 s33, s33, 5
	s_mul_i32 s0, s18, s17
	s_mul_hi_u32 s1, s18, s33
	s_add_i32 s0, s1, s0
	s_mul_i32 s1, s19, s33
	s_add_i32 s36, s0, s1
	v_cmp_lt_u64_e64 s[0:1], s[10:11], 3
	s_mul_i32 s19, s18, s33
	s_and_b64 vcc, exec, s[0:1]
	s_cbranch_vccnz .LBB0_12
; %bb.5:
	s_add_u32 s4, s14, 16
	s_addc_u32 s5, s15, 0
	s_add_u32 s12, s12, 16
	v_mov_b32_e32 v1, s10
	s_addc_u32 s13, s13, 0
	s_mov_b64 s[26:27], 2
	s_mov_b32 s28, 0
	v_mov_b32_e32 v2, s11
.LBB0_6:                                ; =>This Inner Loop Header: Depth=1
	s_load_dwordx2 s[30:31], s[12:13], 0x0
	s_waitcnt lgkmcnt(0)
	s_or_b64 s[0:1], s[24:25], s[30:31]
	s_mov_b32 s29, s1
	s_cmp_lg_u64 s[28:29], 0
	s_cbranch_scc0 .LBB0_11
; %bb.7:                                ;   in Loop: Header=BB0_6 Depth=1
	v_cvt_f32_u32_e32 v3, s30
	v_cvt_f32_u32_e32 v4, s31
	s_sub_u32 s0, 0, s30
	s_subb_u32 s1, 0, s31
	v_mac_f32_e32 v3, 0x4f800000, v4
	v_rcp_f32_e32 v3, v3
	v_mul_f32_e32 v3, 0x5f7ffffc, v3
	v_mul_f32_e32 v4, 0x2f800000, v3
	v_trunc_f32_e32 v4, v4
	v_mac_f32_e32 v3, 0xcf800000, v4
	v_cvt_u32_f32_e32 v4, v4
	v_cvt_u32_f32_e32 v3, v3
	v_readfirstlane_b32 s29, v4
	v_readfirstlane_b32 s34, v3
	s_mul_i32 s35, s0, s29
	s_mul_hi_u32 s38, s0, s34
	s_mul_i32 s37, s1, s34
	s_add_i32 s35, s38, s35
	s_mul_i32 s39, s0, s34
	s_add_i32 s35, s35, s37
	s_mul_hi_u32 s37, s34, s35
	s_mul_i32 s38, s34, s35
	s_mul_hi_u32 s34, s34, s39
	s_add_u32 s34, s34, s38
	s_addc_u32 s37, 0, s37
	s_mul_hi_u32 s40, s29, s39
	s_mul_i32 s39, s29, s39
	s_add_u32 s34, s34, s39
	s_mul_hi_u32 s38, s29, s35
	s_addc_u32 s34, s37, s40
	s_addc_u32 s37, s38, 0
	s_mul_i32 s35, s29, s35
	s_add_u32 s34, s34, s35
	s_addc_u32 s35, 0, s37
	v_add_co_u32_e32 v3, vcc, s34, v3
	s_cmp_lg_u64 vcc, 0
	s_addc_u32 s29, s29, s35
	v_readfirstlane_b32 s35, v3
	s_mul_i32 s34, s0, s29
	s_mul_hi_u32 s37, s0, s35
	s_add_i32 s34, s37, s34
	s_mul_i32 s1, s1, s35
	s_add_i32 s34, s34, s1
	s_mul_i32 s0, s0, s35
	s_mul_hi_u32 s37, s29, s0
	s_mul_i32 s38, s29, s0
	s_mul_i32 s40, s35, s34
	s_mul_hi_u32 s0, s35, s0
	s_mul_hi_u32 s39, s35, s34
	s_add_u32 s0, s0, s40
	s_addc_u32 s35, 0, s39
	s_add_u32 s0, s0, s38
	s_mul_hi_u32 s1, s29, s34
	s_addc_u32 s0, s35, s37
	s_addc_u32 s1, s1, 0
	s_mul_i32 s34, s29, s34
	s_add_u32 s0, s0, s34
	s_addc_u32 s1, 0, s1
	v_add_co_u32_e32 v3, vcc, s0, v3
	s_cmp_lg_u64 vcc, 0
	s_addc_u32 s0, s29, s1
	v_readfirstlane_b32 s34, v3
	s_mul_i32 s29, s24, s0
	s_mul_hi_u32 s35, s24, s34
	s_mul_hi_u32 s1, s24, s0
	s_add_u32 s29, s35, s29
	s_addc_u32 s1, 0, s1
	s_mul_hi_u32 s37, s25, s34
	s_mul_i32 s34, s25, s34
	s_add_u32 s29, s29, s34
	s_mul_hi_u32 s35, s25, s0
	s_addc_u32 s1, s1, s37
	s_addc_u32 s29, s35, 0
	s_mul_i32 s0, s25, s0
	s_add_u32 s34, s1, s0
	s_addc_u32 s29, 0, s29
	s_mul_i32 s0, s30, s29
	s_mul_hi_u32 s1, s30, s34
	s_add_i32 s0, s1, s0
	s_mul_i32 s1, s31, s34
	s_add_i32 s35, s0, s1
	s_mul_i32 s1, s30, s34
	v_mov_b32_e32 v3, s1
	s_sub_i32 s0, s25, s35
	v_sub_co_u32_e32 v3, vcc, s24, v3
	s_cmp_lg_u64 vcc, 0
	s_subb_u32 s37, s0, s31
	v_subrev_co_u32_e64 v4, s[0:1], s30, v3
	s_cmp_lg_u64 s[0:1], 0
	s_subb_u32 s0, s37, 0
	s_cmp_ge_u32 s0, s31
	v_readfirstlane_b32 s37, v4
	s_cselect_b32 s1, -1, 0
	s_cmp_ge_u32 s37, s30
	s_cselect_b32 s37, -1, 0
	s_cmp_eq_u32 s0, s31
	s_cselect_b32 s0, s37, s1
	s_add_u32 s1, s34, 1
	s_addc_u32 s37, s29, 0
	s_add_u32 s38, s34, 2
	s_addc_u32 s39, s29, 0
	s_cmp_lg_u32 s0, 0
	s_cselect_b32 s0, s38, s1
	s_cselect_b32 s1, s39, s37
	s_cmp_lg_u64 vcc, 0
	s_subb_u32 s35, s25, s35
	s_cmp_ge_u32 s35, s31
	v_readfirstlane_b32 s38, v3
	s_cselect_b32 s37, -1, 0
	s_cmp_ge_u32 s38, s30
	s_cselect_b32 s38, -1, 0
	s_cmp_eq_u32 s35, s31
	s_cselect_b32 s35, s38, s37
	s_cmp_lg_u32 s35, 0
	s_cselect_b32 s1, s1, s29
	s_cselect_b32 s0, s0, s34
	s_cbranch_execnz .LBB0_9
.LBB0_8:                                ;   in Loop: Header=BB0_6 Depth=1
	v_cvt_f32_u32_e32 v3, s30
	s_sub_i32 s0, 0, s30
	v_rcp_iflag_f32_e32 v3, v3
	v_mul_f32_e32 v3, 0x4f7ffffe, v3
	v_cvt_u32_f32_e32 v3, v3
	v_readfirstlane_b32 s1, v3
	s_mul_i32 s0, s0, s1
	s_mul_hi_u32 s0, s1, s0
	s_add_i32 s1, s1, s0
	s_mul_hi_u32 s0, s24, s1
	s_mul_i32 s29, s0, s30
	s_sub_i32 s29, s24, s29
	s_add_i32 s1, s0, 1
	s_sub_i32 s34, s29, s30
	s_cmp_ge_u32 s29, s30
	s_cselect_b32 s0, s1, s0
	s_cselect_b32 s29, s34, s29
	s_add_i32 s1, s0, 1
	s_cmp_ge_u32 s29, s30
	s_cselect_b32 s0, s1, s0
	s_mov_b32 s1, s28
.LBB0_9:                                ;   in Loop: Header=BB0_6 Depth=1
	s_mul_i32 s23, s30, s23
	s_mul_hi_u32 s29, s30, s22
	s_add_i32 s23, s29, s23
	s_mul_i32 s29, s31, s22
	s_add_i32 s23, s23, s29
	s_mul_i32 s29, s0, s31
	s_mul_hi_u32 s31, s0, s30
	s_load_dwordx2 s[34:35], s[4:5], 0x0
	s_add_i32 s29, s31, s29
	s_mul_i32 s31, s1, s30
	s_mul_i32 s22, s30, s22
	s_add_i32 s29, s29, s31
	s_mul_i32 s30, s0, s30
	s_sub_u32 s24, s24, s30
	s_subb_u32 s25, s25, s29
	s_waitcnt lgkmcnt(0)
	s_mul_i32 s25, s34, s25
	s_mul_hi_u32 s29, s34, s24
	s_add_i32 s25, s29, s25
	s_mul_i32 s29, s35, s24
	s_add_i32 s25, s25, s29
	s_mul_i32 s24, s34, s24
	s_add_u32 s19, s24, s19
	s_addc_u32 s36, s25, s36
	s_add_u32 s26, s26, 1
	s_addc_u32 s27, s27, 0
	;; [unrolled: 2-line block ×3, first 2 shown]
	v_cmp_ge_u64_e32 vcc, s[26:27], v[1:2]
	s_add_u32 s12, s12, 8
	s_addc_u32 s13, s13, 0
	s_cbranch_vccnz .LBB0_13
; %bb.10:                               ;   in Loop: Header=BB0_6 Depth=1
	s_mov_b64 s[24:25], s[0:1]
	s_branch .LBB0_6
.LBB0_11:                               ;   in Loop: Header=BB0_6 Depth=1
                                        ; implicit-def: $sgpr0_sgpr1
	s_branch .LBB0_8
.LBB0_12:
	v_mov_b32_e32 v1, s24
	v_mov_b32_e32 v2, s25
	s_branch .LBB0_15
.LBB0_13:
	v_mov_b32_e32 v1, s22
	v_mov_b32_e32 v2, s23
	v_cmp_lt_u64_e32 vcc, s[6:7], v[1:2]
	v_mov_b32_e32 v1, 0
	v_mov_b32_e32 v2, 0
	s_cbranch_vccnz .LBB0_15
; %bb.14:
	v_cvt_f32_u32_e32 v1, s22
	s_sub_i32 s0, 0, s22
	v_rcp_iflag_f32_e32 v1, v1
	v_mul_f32_e32 v1, 0x4f7ffffe, v1
	v_cvt_u32_f32_e32 v1, v1
	v_mul_lo_u32 v2, s0, v1
	v_mul_hi_u32 v2, v1, v2
	v_add_u32_e32 v1, v1, v2
	v_mul_hi_u32 v1, s6, v1
	v_mul_lo_u32 v2, v1, s22
	v_add_u32_e32 v3, 1, v1
	v_sub_u32_e32 v2, s6, v2
	v_subrev_u32_e32 v4, s22, v2
	v_cmp_le_u32_e32 vcc, s22, v2
	v_cndmask_b32_e32 v2, v2, v4, vcc
	v_cndmask_b32_e32 v1, v1, v3, vcc
	v_add_u32_e32 v3, 1, v1
	v_cmp_le_u32_e32 vcc, s22, v2
	v_cndmask_b32_e32 v1, v1, v3, vcc
.LBB0_15:
	s_lshl_b64 s[0:1], s[10:11], 3
	s_add_u32 s0, s14, s0
	s_addc_u32 s1, s15, s1
	s_load_dword s0, s[0:1], 0x0
	s_mov_b32 s1, 0x33333334
	v_mul_hi_u32 v3, v0, s1
	v_mov_b32_e32 v2, s17
	s_mov_b32 s11, 0x20000
	s_waitcnt lgkmcnt(0)
	v_mul_lo_u32 v1, s0, v1
	v_mul_u32_u24_e32 v4, 5, v3
	v_sub_u32_e32 v20, v0, v4
	s_add_u32 s0, s33, 5
	v_add_u32_e32 v6, s19, v1
	v_add_co_u32_e32 v1, vcc, s33, v20
	v_mov_b32_e32 v4, s20
	v_addc_co_u32_e32 v2, vcc, 0, v2, vcc
	s_addc_u32 s1, s17, 0
	v_mov_b32_e32 v5, s21
	v_cmp_le_u64_e32 vcc, s[0:1], v[4:5]
	v_add_u32_e32 v5, 49, v3
	v_mul_lo_u32 v9, s18, v20
	v_lshlrev_b32_e32 v4, 3, v6
	v_mul_lo_u32 v5, s16, v5
	v_add_u32_e32 v6, 0x62, v3
	v_mul_lo_u32 v6, s16, v6
	v_cmp_gt_u64_e64 s[0:1], s[20:21], v[1:2]
	v_mul_lo_u32 v7, s16, v3
	s_or_b64 vcc, vcc, s[0:1]
	v_readfirstlane_b32 s0, v4
	v_add_lshl_u32 v4, v9, v5, 3
	v_add_u32_e32 v5, 0xf5, v3
	v_cndmask_b32_e32 v8, -1, v4, vcc
	v_add_lshl_u32 v4, v9, v6, 3
	v_mul_lo_u32 v5, s16, v5
	v_add_u32_e32 v6, 0x126, v3
	v_mul_lo_u32 v6, s16, v6
	v_cndmask_b32_e32 v16, -1, v4, vcc
	v_add_u32_e32 v4, 0xc4, v3
	v_mul_lo_u32 v13, s16, v4
	v_add_lshl_u32 v4, v9, v5, 3
	s_mov_b32 s10, -2
	v_add_u32_e32 v12, 0x93, v3
	v_cndmask_b32_e32 v14, -1, v4, vcc
	v_add_lshl_u32 v4, v9, v6, 3
	v_add_lshl_u32 v2, v9, v7, 3
	v_cndmask_b32_e32 v15, -1, v4, vcc
	buffer_load_dwordx2 v[4:5], v14, s[8:11], s0 offen
	buffer_load_dwordx2 v[6:7], v15, s[8:11], s0 offen
	;; [unrolled: 1-line block ×3, first 2 shown]
	v_mul_lo_u32 v8, s16, v12
	v_add_lshl_u32 v12, v9, v13, 3
	v_cndmask_b32_e32 v17, -1, v12, vcc
	buffer_load_dwordx2 v[12:13], v16, s[8:11], s0 offen
	buffer_load_dwordx2 v[14:15], v17, s[8:11], s0 offen
	v_add_lshl_u32 v8, v9, v8, 3
	v_cndmask_b32_e32 v8, -1, v8, vcc
	v_cndmask_b32_e32 v2, -1, v2, vcc
	buffer_load_dwordx2 v[16:17], v8, s[8:11], s0 offen
	buffer_load_dwordx2 v[18:19], v2, s[8:11], s0 offen
	s_mov_b32 s1, 0x3f5ff5aa
	s_mov_b32 s4, 0x3f3bfb3b
	;; [unrolled: 1-line block ×5, first 2 shown]
	s_waitcnt vmcnt(4)
	v_add_f32_e32 v2, v10, v6
	v_sub_f32_e32 v6, v10, v6
	v_add_f32_e32 v8, v11, v7
	s_waitcnt vmcnt(3)
	v_add_f32_e32 v10, v12, v4
	v_sub_f32_e32 v7, v11, v7
	v_add_f32_e32 v11, v13, v5
	v_sub_f32_e32 v4, v12, v4
	s_waitcnt vmcnt(1)
	v_add_f32_e32 v12, v16, v14
	v_sub_f32_e32 v14, v14, v16
	v_add_f32_e32 v16, v10, v2
	v_sub_f32_e32 v5, v13, v5
	;; [unrolled: 2-line block ×4, first 2 shown]
	v_sub_f32_e32 v2, v2, v12
	v_sub_f32_e32 v10, v12, v10
	v_add_f32_e32 v12, v12, v16
	v_sub_f32_e32 v22, v11, v8
	v_sub_f32_e32 v8, v8, v13
	;; [unrolled: 1-line block ×3, first 2 shown]
	v_add_f32_e32 v23, v14, v4
	v_sub_f32_e32 v25, v14, v4
	v_sub_f32_e32 v27, v4, v6
	v_add_f32_e32 v13, v13, v17
	s_waitcnt vmcnt(0)
	v_add_f32_e32 v4, v18, v12
	v_add_f32_e32 v24, v15, v5
	v_sub_f32_e32 v26, v15, v5
	v_sub_f32_e32 v14, v6, v14
	;; [unrolled: 1-line block ×3, first 2 shown]
	v_add_f32_e32 v6, v23, v6
	v_mul_f32_e32 v23, 0xbf08b237, v25
	v_add_f32_e32 v5, v19, v13
	v_mov_b32_e32 v25, v4
	v_sub_f32_e32 v15, v7, v15
	v_mul_f32_e32 v2, 0x3f4a47b2, v2
	v_mul_f32_e32 v8, 0x3f4a47b2, v8
	;; [unrolled: 1-line block ×5, first 2 shown]
	v_fmac_f32_e32 v25, 0xbf955555, v12
	v_mov_b32_e32 v12, v5
	v_add_f32_e32 v7, v24, v7
	v_mul_f32_e32 v19, 0x3f5ff5aa, v27
	v_mul_f32_e32 v24, 0x3f5ff5aa, v28
	v_fmac_f32_e32 v12, 0xbf955555, v13
	v_fma_f32 v13, v21, s4, -v16
	v_fma_f32 v16, v22, s4, -v17
	;; [unrolled: 1-line block ×3, first 2 shown]
	v_fmac_f32_e32 v2, 0x3d64c772, v10
	v_fma_f32 v10, v22, s5, -v8
	v_fma_f32 v22, v28, s1, -v18
	v_fmac_f32_e32 v18, 0x3eae86e6, v15
	v_fmac_f32_e32 v8, 0x3d64c772, v11
	v_fma_f32 v21, v27, s1, -v23
	v_fmac_f32_e32 v23, 0x3eae86e6, v14
	v_fma_f32 v19, v14, s6, -v19
	v_fma_f32 v24, v15, s6, -v24
	v_add_f32_e32 v2, v2, v25
	v_fmac_f32_e32 v18, 0x3ee1c552, v7
	v_add_f32_e32 v26, v8, v12
	v_fmac_f32_e32 v23, 0x3ee1c552, v6
	v_fmac_f32_e32 v21, 0x3ee1c552, v6
	;; [unrolled: 1-line block ×5, first 2 shown]
	v_add_f32_e32 v7, v18, v2
	v_sub_f32_e32 v18, v2, v18
	v_mul_u32_u24_e32 v2, 0x118, v3
	v_lshlrev_b32_e32 v6, 3, v20
	v_add_f32_e32 v14, v13, v25
	v_add_f32_e32 v15, v16, v12
	;; [unrolled: 1-line block ×4, first 2 shown]
	v_sub_f32_e32 v8, v26, v23
	v_add3_u32 v2, 0, v2, v6
	v_add_f32_e32 v10, v24, v16
	v_sub_f32_e32 v11, v17, v19
	v_sub_f32_e32 v12, v14, v22
	v_add_f32_e32 v13, v21, v15
	v_add_f32_e32 v14, v22, v14
	v_sub_f32_e32 v15, v15, v21
	v_sub_f32_e32 v16, v16, v24
	v_add_f32_e32 v17, v19, v17
	v_add_f32_e32 v19, v23, v26
	ds_write2_b64 v2, v[4:5], v[7:8] offset1:5
	ds_write2_b64 v2, v[10:11], v[12:13] offset0:10 offset1:15
	ds_write2_b64 v2, v[14:15], v[16:17] offset0:20 offset1:25
	ds_write_b64 v2, v[18:19] offset:240
	v_mul_hi_u32 v4, v3, s7
	s_waitcnt lgkmcnt(0)
	s_barrier
	v_mul_u32_u24_e32 v4, 7, v4
	v_sub_u32_e32 v30, v3, v4
	v_mul_u32_u24_e32 v4, 6, v30
	v_lshlrev_b32_e32 v4, 3, v4
	global_load_dwordx4 v[10:13], v4, s[2:3]
	global_load_dwordx4 v[14:17], v4, s[2:3] offset:16
	global_load_dwordx4 v[18:21], v4, s[2:3] offset:32
	s_movk_i32 s7, 0xff10
	v_mad_i32_i24 v2, v3, s7, v2
	v_add_u32_e32 v4, 0xf00, v2
	ds_read2_b64 v[22:25], v2 offset1:245
	ds_read2_b64 v[26:29], v4 offset0:10 offset1:255
	v_add_u32_e32 v5, 0x1e80, v2
	s_mov_b32 s7, 0x7507508
	s_waitcnt vmcnt(2) lgkmcnt(1)
	v_mul_f32_e32 v7, v11, v25
	v_mul_f32_e32 v31, v11, v24
	s_waitcnt lgkmcnt(0)
	v_mul_f32_e32 v8, v13, v27
	v_mul_f32_e32 v32, v13, v26
	v_fma_f32 v24, v10, v24, -v7
	v_fmac_f32_e32 v31, v10, v25
	v_fma_f32 v25, v12, v26, -v8
	v_fmac_f32_e32 v32, v12, v27
	ds_read2_b64 v[10:13], v5 offset0:4 offset1:249
	s_waitcnt vmcnt(1)
	v_mul_f32_e32 v7, v15, v29
	v_mul_f32_e32 v15, v15, v28
	v_fma_f32 v26, v14, v28, -v7
	ds_read_b64 v[7:8], v2 offset:11760
	v_fmac_f32_e32 v15, v14, v29
	s_waitcnt lgkmcnt(1)
	v_mul_f32_e32 v14, v17, v11
	v_fma_f32 v14, v16, v10, -v14
	v_mul_f32_e32 v10, v17, v10
	v_fmac_f32_e32 v10, v16, v11
	s_waitcnt vmcnt(0)
	v_mul_f32_e32 v11, v19, v13
	v_fma_f32 v11, v18, v12, -v11
	v_mul_f32_e32 v12, v19, v12
	v_fmac_f32_e32 v12, v18, v13
	s_waitcnt lgkmcnt(0)
	v_mul_f32_e32 v13, v21, v8
	v_fma_f32 v13, v20, v7, -v13
	v_mul_f32_e32 v7, v21, v7
	v_fmac_f32_e32 v7, v20, v8
	v_add_f32_e32 v8, v24, v13
	v_add_f32_e32 v17, v25, v11
	;; [unrolled: 1-line block ×4, first 2 shown]
	v_sub_f32_e32 v12, v32, v12
	v_add_f32_e32 v19, v26, v14
	v_add_f32_e32 v20, v15, v10
	v_sub_f32_e32 v10, v10, v15
	v_add_f32_e32 v15, v17, v8
	v_sub_f32_e32 v7, v31, v7
	v_sub_f32_e32 v11, v25, v11
	;; [unrolled: 1-line block ×3, first 2 shown]
	v_add_f32_e32 v21, v18, v16
	v_add_f32_e32 v27, v10, v12
	;; [unrolled: 1-line block ×3, first 2 shown]
	v_sub_f32_e32 v13, v24, v13
	v_sub_f32_e32 v24, v17, v8
	;; [unrolled: 1-line block ×7, first 2 shown]
	v_add_f32_e32 v8, v14, v11
	v_sub_f32_e32 v29, v10, v12
	v_sub_f32_e32 v10, v7, v10
	;; [unrolled: 1-line block ×3, first 2 shown]
	v_add_f32_e32 v19, v20, v21
	v_add_f32_e32 v20, v27, v7
	v_add_f32_e32 v7, v15, v22
	v_sub_f32_e32 v28, v14, v11
	v_sub_f32_e32 v14, v13, v14
	;; [unrolled: 1-line block ×3, first 2 shown]
	v_add_f32_e32 v13, v8, v13
	v_add_f32_e32 v8, v19, v23
	v_mov_b32_e32 v31, v7
	v_mul_f32_e32 v21, 0x3f4a47b2, v26
	v_mul_f32_e32 v16, 0x3f4a47b2, v16
	;; [unrolled: 1-line block ×8, first 2 shown]
	v_fmac_f32_e32 v31, 0xbf955555, v15
	v_mov_b32_e32 v15, v8
	v_fmac_f32_e32 v15, 0xbf955555, v19
	v_fma_f32 v19, v24, s4, -v22
	v_fma_f32 v22, v25, s4, -v23
	;; [unrolled: 1-line block ×3, first 2 shown]
	v_fmac_f32_e32 v21, 0x3d64c772, v17
	v_fma_f32 v17, v25, s5, -v16
	v_fmac_f32_e32 v16, 0x3d64c772, v18
	v_fma_f32 v18, v11, s1, -v26
	v_fma_f32 v25, v14, s6, -v28
	;; [unrolled: 1-line block ×3, first 2 shown]
	v_add_f32_e32 v29, v16, v15
	v_add_f32_e32 v16, v19, v31
	;; [unrolled: 1-line block ×4, first 2 shown]
	v_fmac_f32_e32 v18, 0x3ee1c552, v13
	v_fmac_f32_e32 v28, 0x3ee1c552, v20
	v_fma_f32 v24, v12, s1, -v27
	v_add_f32_e32 v23, v17, v15
	v_add_f32_e32 v12, v28, v22
	v_add_f32_e32 v15, v18, v19
	v_sub_f32_e32 v17, v19, v18
	v_sub_f32_e32 v18, v22, v28
	v_mul_hi_u32 v22, v0, s7
	v_fmac_f32_e32 v26, 0x3eae86e6, v14
	v_fmac_f32_e32 v27, 0x3eae86e6, v10
	v_add_f32_e32 v21, v21, v31
	v_mad_u32_u24 v22, v22, 49, v30
	v_fmac_f32_e32 v26, 0x3ee1c552, v13
	v_fmac_f32_e32 v27, 0x3ee1c552, v20
	v_mul_i32_i24_e32 v22, 40, v22
	v_fmac_f32_e32 v24, 0x3ee1c552, v20
	v_fmac_f32_e32 v25, 0x3ee1c552, v13
	v_add_f32_e32 v10, v27, v21
	v_sub_f32_e32 v11, v29, v26
	v_add3_u32 v6, 0, v22, v6
	s_mov_b32 s7, 0x539782a
	v_sub_f32_e32 v13, v23, v25
	v_sub_f32_e32 v14, v16, v24
	v_add_f32_e32 v16, v24, v16
	v_add_f32_e32 v19, v25, v23
	v_sub_f32_e32 v20, v21, v27
	v_add_f32_e32 v21, v26, v29
	s_barrier
	ds_write2_b64 v6, v[7:8], v[10:11] offset1:35
	ds_write2_b64 v6, v[12:13], v[14:15] offset0:70 offset1:105
	ds_write2_b64 v6, v[16:17], v[18:19] offset0:140 offset1:175
	ds_write_b64 v6, v[20:21] offset:1680
	v_mul_hi_u32 v6, v3, s7
	s_waitcnt lgkmcnt(0)
	s_barrier
	v_mul_u32_u24_e32 v6, 49, v6
	v_sub_u32_e32 v10, v3, v6
	v_mul_u32_u24_e32 v3, 6, v10
	v_lshlrev_b32_e32 v3, 3, v3
	global_load_dwordx4 v[11:14], v3, s[2:3] offset:336
	global_load_dwordx4 v[15:18], v3, s[2:3] offset:352
	;; [unrolled: 1-line block ×3, first 2 shown]
	ds_read2_b64 v[23:26], v2 offset1:245
	ds_read2_b64 v[27:30], v4 offset0:10 offset1:255
	ds_read2_b64 v[3:6], v5 offset0:4 offset1:249
	ds_read_b64 v[7:8], v2 offset:11760
	s_waitcnt vmcnt(2) lgkmcnt(3)
	v_mul_f32_e32 v2, v12, v26
	v_mul_f32_e32 v12, v12, v25
	v_fma_f32 v2, v11, v25, -v2
	v_fmac_f32_e32 v12, v11, v26
	s_waitcnt lgkmcnt(2)
	v_mul_f32_e32 v11, v14, v28
	v_mul_f32_e32 v14, v14, v27
	v_fma_f32 v11, v13, v27, -v11
	v_fmac_f32_e32 v14, v13, v28
	s_waitcnt vmcnt(1)
	v_mul_f32_e32 v13, v16, v30
	v_mul_f32_e32 v16, v16, v29
	v_fma_f32 v13, v15, v29, -v13
	v_fmac_f32_e32 v16, v15, v30
	s_waitcnt lgkmcnt(1)
	v_mul_f32_e32 v15, v18, v4
	v_fma_f32 v15, v17, v3, -v15
	v_mul_f32_e32 v3, v18, v3
	v_fmac_f32_e32 v3, v17, v4
	s_waitcnt vmcnt(0)
	v_mul_f32_e32 v4, v20, v6
	v_fma_f32 v4, v19, v5, -v4
	v_mul_f32_e32 v5, v20, v5
	v_fmac_f32_e32 v5, v19, v6
	s_waitcnt lgkmcnt(0)
	v_mul_f32_e32 v6, v22, v8
	v_fma_f32 v6, v21, v7, -v6
	v_mul_f32_e32 v7, v22, v7
	v_fmac_f32_e32 v7, v21, v8
	v_add_f32_e32 v8, v2, v6
	v_add_f32_e32 v17, v12, v7
	v_sub_f32_e32 v2, v2, v6
	v_sub_f32_e32 v6, v12, v7
	v_add_f32_e32 v7, v11, v4
	v_add_f32_e32 v12, v14, v5
	v_sub_f32_e32 v4, v11, v4
	v_add_f32_e32 v11, v13, v15
	v_sub_f32_e32 v13, v15, v13
	;; [unrolled: 2-line block ×5, first 2 shown]
	v_sub_f32_e32 v8, v8, v11
	v_sub_f32_e32 v7, v11, v7
	v_add_f32_e32 v20, v13, v4
	v_add_f32_e32 v11, v11, v15
	v_sub_f32_e32 v19, v12, v17
	v_sub_f32_e32 v17, v17, v14
	;; [unrolled: 1-line block ×3, first 2 shown]
	v_add_f32_e32 v21, v3, v5
	v_sub_f32_e32 v22, v13, v4
	v_sub_f32_e32 v13, v2, v13
	;; [unrolled: 1-line block ×3, first 2 shown]
	v_add_f32_e32 v14, v14, v16
	v_add_f32_e32 v2, v20, v2
	;; [unrolled: 1-line block ×3, first 2 shown]
	v_sub_f32_e32 v25, v3, v5
	v_sub_f32_e32 v3, v6, v3
	;; [unrolled: 1-line block ×3, first 2 shown]
	v_add_f32_e32 v6, v21, v6
	v_add_f32_e32 v21, v14, v24
	v_mov_b32_e32 v26, v20
	v_mul_f32_e32 v8, 0x3f4a47b2, v8
	v_mul_f32_e32 v15, 0x3f4a47b2, v17
	;; [unrolled: 1-line block ×6, first 2 shown]
	v_fmac_f32_e32 v26, 0xbf955555, v11
	v_mov_b32_e32 v11, v21
	v_fmac_f32_e32 v11, 0xbf955555, v14
	v_fma_f32 v14, v18, s4, -v16
	v_fma_f32 v16, v19, s4, -v17
	;; [unrolled: 1-line block ×3, first 2 shown]
	v_fmac_f32_e32 v8, 0x3d64c772, v7
	v_fma_f32 v7, v19, s5, -v15
	v_fmac_f32_e32 v15, 0x3d64c772, v12
	v_fma_f32 v4, v4, s1, -v22
	;; [unrolled: 2-line block ×3, first 2 shown]
	v_fmac_f32_e32 v22, 0x3ee1c552, v2
	v_fmac_f32_e32 v4, 0x3ee1c552, v2
	;; [unrolled: 1-line block ×3, first 2 shown]
	v_mul_lo_u32 v2, v10, v1
	v_mul_f32_e32 v23, 0xbf08b237, v25
	v_mul_f32_e32 v25, 0x3f5ff5aa, v5
	v_fma_f32 v5, v5, s1, -v23
	v_fmac_f32_e32 v23, 0x3eae86e6, v3
	v_fma_f32 v3, v3, s6, -v25
	v_add_f32_e32 v16, v16, v11
	v_mul_lo_u32 v30, v1, 49
	v_add_f32_e32 v17, v17, v26
	v_fmac_f32_e32 v3, 0x3ee1c552, v6
	v_add_f32_e32 v29, v4, v16
	v_sub_f32_e32 v16, v16, v4
	v_lshrrev_b32_e32 v4, 2, v2
	v_add_f32_e32 v8, v8, v26
	v_add_f32_e32 v13, v15, v11
	;; [unrolled: 1-line block ×5, first 2 shown]
	v_sub_f32_e32 v11, v17, v3
	v_and_b32_e32 v3, 31, v2
	v_and_b32_e32 v4, 0xf8, v4
	s_add_i32 s1, 0, 0x3598
	v_lshrrev_b32_e32 v1, 7, v2
	v_fmac_f32_e32 v5, 0x3ee1c552, v6
	v_lshl_add_u32 v3, v3, 3, 0
	v_add_u32_e32 v4, s1, v4
	v_and_b32_e32 v1, 0xf8, v1
	v_sub_f32_e32 v28, v14, v5
	v_add_f32_e32 v15, v5, v14
	v_add_u32_e32 v5, s1, v1
	v_add_u32_e32 v17, v2, v30
	ds_read_b64 v[1:2], v3 offset:13720
	ds_read_b64 v[3:4], v4 offset:256
	v_fmac_f32_e32 v23, 0x3ee1c552, v6
	v_and_b32_e32 v6, 31, v17
	v_sub_f32_e32 v27, v7, v12
	v_add_f32_e32 v14, v12, v7
	v_lshl_add_u32 v7, v6, 3, 0
	v_add_f32_e32 v24, v23, v8
	v_sub_f32_e32 v12, v8, v23
	ds_read_b64 v[5:6], v5 offset:512
	ds_read_b64 v[7:8], v7 offset:13720
	s_waitcnt lgkmcnt(2)
	v_mul_f32_e32 v18, v2, v4
	v_fma_f32 v18, v1, v3, -v18
	v_mul_f32_e32 v1, v1, v4
	v_fmac_f32_e32 v1, v2, v3
	s_waitcnt lgkmcnt(1)
	v_mul_f32_e32 v2, v1, v6
	v_fma_f32 v3, v5, v18, -v2
	v_mul_f32_e32 v2, v18, v6
	v_fmac_f32_e32 v2, v5, v1
	v_mul_f32_e32 v1, v21, v2
	v_mul_f32_e32 v2, v20, v2
	v_lshrrev_b32_e32 v4, 7, v17
	v_fma_f32 v1, v20, v3, -v1
	v_fmac_f32_e32 v2, v21, v3
	v_lshrrev_b32_e32 v3, 2, v17
	v_and_b32_e32 v4, 0xf8, v4
	v_add_u32_e32 v21, v17, v30
	v_and_b32_e32 v3, 0xf8, v3
	v_add_u32_e32 v5, s1, v4
	;; [unrolled: 2-line block ×3, first 2 shown]
	v_lshl_add_u32 v17, v4, 3, 0
	v_lshrrev_b32_e32 v4, 2, v21
	v_and_b32_e32 v6, 0xf8, v4
	ds_read_b64 v[3:4], v3 offset:256
	v_add_u32_e32 v19, s1, v6
	ds_read_b64 v[5:6], v5 offset:512
	ds_read_b64 v[17:18], v17 offset:13720
	;; [unrolled: 1-line block ×3, first 2 shown]
	v_sub_f32_e32 v25, v13, v22
	v_add_f32_e32 v13, v22, v13
	s_waitcnt lgkmcnt(3)
	v_mul_f32_e32 v22, v8, v4
	v_mul_f32_e32 v4, v7, v4
	v_fma_f32 v22, v7, v3, -v22
	v_fmac_f32_e32 v4, v8, v3
	s_waitcnt lgkmcnt(2)
	v_mul_f32_e32 v3, v4, v6
	v_mul_f32_e32 v6, v22, v6
	v_fmac_f32_e32 v6, v5, v4
	v_add_u32_e32 v23, v21, v30
	v_fma_f32 v7, v5, v22, -v3
	v_mul_f32_e32 v3, v25, v6
	v_mul_f32_e32 v4, v24, v6
	s_waitcnt lgkmcnt(0)
	v_mul_f32_e32 v5, v18, v20
	v_and_b32_e32 v6, 31, v23
	v_fma_f32 v3, v24, v7, -v3
	v_fmac_f32_e32 v4, v25, v7
	v_fma_f32 v7, v17, v19, -v5
	v_mul_f32_e32 v8, v17, v20
	v_lshrrev_b32_e32 v5, 7, v21
	v_lshl_add_u32 v17, v6, 3, 0
	v_lshrrev_b32_e32 v6, 2, v23
	v_and_b32_e32 v5, 0xf8, v5
	v_and_b32_e32 v6, 0xf8, v6
	v_fmac_f32_e32 v8, v18, v19
	v_add_u32_e32 v5, s1, v5
	v_add_u32_e32 v19, s1, v6
	v_lshrrev_b32_e32 v6, 7, v23
	v_and_b32_e32 v18, 0xf8, v6
	ds_read_b64 v[5:6], v5 offset:512
	v_add_u32_e32 v21, s1, v18
	ds_read_b64 v[17:18], v17 offset:13720
	ds_read_b64 v[19:20], v19 offset:256
	;; [unrolled: 1-line block ×3, first 2 shown]
	s_waitcnt lgkmcnt(3)
	v_mul_f32_e32 v24, v8, v6
	v_mul_f32_e32 v6, v7, v6
	v_fmac_f32_e32 v6, v5, v8
	v_fma_f32 v24, v5, v7, -v24
	v_mul_f32_e32 v5, v27, v6
	v_fma_f32 v7, v26, v24, -v5
	s_waitcnt lgkmcnt(1)
	v_mul_f32_e32 v5, v18, v20
	v_mul_f32_e32 v8, v26, v6
	v_fma_f32 v5, v17, v19, -v5
	v_mul_f32_e32 v6, v17, v20
	v_fmac_f32_e32 v6, v18, v19
	s_waitcnt lgkmcnt(0)
	v_mul_f32_e32 v18, v5, v22
	v_mul_f32_e32 v17, v6, v22
	v_fmac_f32_e32 v18, v21, v6
	v_fma_f32 v17, v21, v5, -v17
	v_mul_f32_e32 v5, v29, v18
	v_mul_f32_e32 v6, v28, v18
	v_fma_f32 v5, v28, v17, -v5
	v_fmac_f32_e32 v6, v29, v17
	v_add_u32_e32 v17, v23, v30
	v_lshrrev_b32_e32 v19, 2, v17
	v_and_b32_e32 v18, 31, v17
	v_and_b32_e32 v19, 0xf8, v19
	v_lshrrev_b32_e32 v20, 7, v17
	v_lshl_add_u32 v18, v18, 3, 0
	v_add_u32_e32 v19, s1, v19
	v_and_b32_e32 v20, 0xf8, v20
	v_add_u32_e32 v21, s1, v20
	v_add_u32_e32 v25, v17, v30
	ds_read_b64 v[17:18], v18 offset:13720
	ds_read_b64 v[19:20], v19 offset:256
	v_and_b32_e32 v22, 31, v25
	v_lshl_add_u32 v23, v22, 3, 0
	v_fmac_f32_e32 v8, v27, v24
	ds_read_b64 v[21:22], v21 offset:512
	ds_read_b64 v[23:24], v23 offset:13720
	s_waitcnt lgkmcnt(2)
	v_mul_f32_e32 v26, v18, v20
	v_fma_f32 v26, v17, v19, -v26
	v_mul_f32_e32 v17, v17, v20
	v_fmac_f32_e32 v17, v18, v19
	s_waitcnt lgkmcnt(1)
	v_mul_f32_e32 v18, v17, v22
	v_fma_f32 v19, v21, v26, -v18
	v_mul_f32_e32 v18, v26, v22
	v_fmac_f32_e32 v18, v21, v17
	v_mul_f32_e32 v17, v16, v18
	v_mul_f32_e32 v18, v15, v18
	v_fmac_f32_e32 v18, v16, v19
	v_lshrrev_b32_e32 v16, 7, v25
	v_fma_f32 v17, v15, v19, -v17
	v_lshrrev_b32_e32 v15, 2, v25
	v_and_b32_e32 v16, 0xf8, v16
	v_add_u32_e32 v27, v25, v30
	v_and_b32_e32 v15, 0xf8, v15
	v_add_u32_e32 v19, s1, v16
	;; [unrolled: 2-line block ×3, first 2 shown]
	v_lshl_add_u32 v21, v16, 3, 0
	v_lshrrev_b32_e32 v16, 2, v27
	v_and_b32_e32 v20, 0xf8, v16
	ds_read_b64 v[15:16], v15 offset:256
	v_add_u32_e32 v25, s1, v20
	ds_read_b64 v[19:20], v19 offset:512
	ds_read_b64 v[21:22], v21 offset:13720
	;; [unrolled: 1-line block ×3, first 2 shown]
	s_waitcnt lgkmcnt(3)
	v_mul_f32_e32 v28, v24, v16
	v_mul_f32_e32 v16, v23, v16
	v_fma_f32 v28, v23, v15, -v28
	v_fmac_f32_e32 v16, v24, v15
	s_waitcnt lgkmcnt(2)
	v_mul_f32_e32 v15, v16, v20
	v_mul_f32_e32 v20, v28, v20
	v_fmac_f32_e32 v20, v19, v16
	v_fma_f32 v23, v19, v28, -v15
	v_mul_f32_e32 v15, v14, v20
	v_fma_f32 v15, v11, v23, -v15
	v_mul_f32_e32 v16, v11, v20
	v_lshrrev_b32_e32 v11, 7, v27
	v_and_b32_e32 v11, 0xf8, v11
	v_add_u32_e32 v11, s1, v11
	ds_read_b64 v[19:20], v11 offset:512
	s_mov_b32 s1, 0x10b7e6f
	v_fmac_f32_e32 v16, v14, v23
	s_waitcnt lgkmcnt(1)
	v_mul_f32_e32 v14, v21, v26
	v_mul_hi_u32 v0, v0, s1
	v_mul_f32_e32 v11, v22, v26
	v_fmac_f32_e32 v14, v22, v25
	v_fma_f32 v11, v21, v25, -v11
	s_waitcnt lgkmcnt(0)
	v_mul_f32_e32 v21, v14, v20
	v_fma_f32 v21, v19, v11, -v21
	v_mul_f32_e32 v11, v11, v20
	s_movk_i32 s1, 0x157
	v_fmac_f32_e32 v11, v19, v14
	v_mad_u32_u24 v0, v0, s1, v10
	v_mul_f32_e32 v14, v13, v11
	v_mul_lo_u32 v19, s16, v0
	v_mul_f32_e32 v11, v12, v11
	v_fmac_f32_e32 v11, v13, v21
	v_add_u32_e32 v13, 49, v0
	v_mul_lo_u32 v13, s16, v13
	v_fma_f32 v10, v12, v21, -v14
	v_add_lshl_u32 v12, v9, v19, 3
	v_cndmask_b32_e32 v12, -1, v12, vcc
	buffer_store_dwordx2 v[1:2], v12, s[8:11], s0 offen
	v_add_u32_e32 v1, 0x62, v0
	v_add_lshl_u32 v2, v9, v13, 3
	v_mul_lo_u32 v1, s16, v1
	v_cndmask_b32_e32 v2, -1, v2, vcc
	buffer_store_dwordx2 v[3:4], v2, s[8:11], s0 offen
	v_add_u32_e32 v2, 0x93, v0
	v_mul_lo_u32 v2, s16, v2
	v_add_lshl_u32 v1, v9, v1, 3
	v_cndmask_b32_e32 v1, -1, v1, vcc
	buffer_store_dwordx2 v[7:8], v1, s[8:11], s0 offen
	v_add_u32_e32 v1, 0xc4, v0
	v_add_lshl_u32 v2, v9, v2, 3
	v_mul_lo_u32 v1, s16, v1
	v_cndmask_b32_e32 v2, -1, v2, vcc
	buffer_store_dwordx2 v[5:6], v2, s[8:11], s0 offen
	v_add_u32_e32 v2, 0xf5, v0
	v_add_u32_e32 v0, 0x126, v0
	v_mul_lo_u32 v2, s16, v2
	v_mul_lo_u32 v0, s16, v0
	v_add_lshl_u32 v1, v9, v1, 3
	v_cndmask_b32_e32 v1, -1, v1, vcc
	buffer_store_dwordx2 v[17:18], v1, s[8:11], s0 offen
	v_add_lshl_u32 v1, v9, v2, 3
	v_add_lshl_u32 v0, v9, v0, 3
	v_cndmask_b32_e32 v1, -1, v1, vcc
	v_cndmask_b32_e32 v0, -1, v0, vcc
	buffer_store_dwordx2 v[15:16], v1, s[8:11], s0 offen
	buffer_store_dwordx2 v[10:11], v0, s[8:11], s0 offen
	s_endpgm
	.section	.rodata,"a",@progbits
	.p2align	6, 0x0
	.amdhsa_kernel fft_rtc_fwd_len343_factors_7_7_7_wgs_245_tpt_49_sp_ip_CI_sbcc_twdbase5_3step_dirReg_intrinsicReadWrite
		.amdhsa_group_segment_fixed_size 0
		.amdhsa_private_segment_fixed_size 0
		.amdhsa_kernarg_size 96
		.amdhsa_user_sgpr_count 6
		.amdhsa_user_sgpr_private_segment_buffer 1
		.amdhsa_user_sgpr_dispatch_ptr 0
		.amdhsa_user_sgpr_queue_ptr 0
		.amdhsa_user_sgpr_kernarg_segment_ptr 1
		.amdhsa_user_sgpr_dispatch_id 0
		.amdhsa_user_sgpr_flat_scratch_init 0
		.amdhsa_user_sgpr_private_segment_size 0
		.amdhsa_uses_dynamic_stack 0
		.amdhsa_system_sgpr_private_segment_wavefront_offset 0
		.amdhsa_system_sgpr_workgroup_id_x 1
		.amdhsa_system_sgpr_workgroup_id_y 0
		.amdhsa_system_sgpr_workgroup_id_z 0
		.amdhsa_system_sgpr_workgroup_info 0
		.amdhsa_system_vgpr_workitem_id 0
		.amdhsa_next_free_vgpr 33
		.amdhsa_next_free_sgpr 41
		.amdhsa_reserve_vcc 1
		.amdhsa_reserve_flat_scratch 0
		.amdhsa_float_round_mode_32 0
		.amdhsa_float_round_mode_16_64 0
		.amdhsa_float_denorm_mode_32 3
		.amdhsa_float_denorm_mode_16_64 3
		.amdhsa_dx10_clamp 1
		.amdhsa_ieee_mode 1
		.amdhsa_fp16_overflow 0
		.amdhsa_exception_fp_ieee_invalid_op 0
		.amdhsa_exception_fp_denorm_src 0
		.amdhsa_exception_fp_ieee_div_zero 0
		.amdhsa_exception_fp_ieee_overflow 0
		.amdhsa_exception_fp_ieee_underflow 0
		.amdhsa_exception_fp_ieee_inexact 0
		.amdhsa_exception_int_div_zero 0
	.end_amdhsa_kernel
	.text
.Lfunc_end0:
	.size	fft_rtc_fwd_len343_factors_7_7_7_wgs_245_tpt_49_sp_ip_CI_sbcc_twdbase5_3step_dirReg_intrinsicReadWrite, .Lfunc_end0-fft_rtc_fwd_len343_factors_7_7_7_wgs_245_tpt_49_sp_ip_CI_sbcc_twdbase5_3step_dirReg_intrinsicReadWrite
                                        ; -- End function
	.section	.AMDGPU.csdata,"",@progbits
; Kernel info:
; codeLenInByte = 5168
; NumSgprs: 45
; NumVgprs: 33
; ScratchSize: 0
; MemoryBound: 0
; FloatMode: 240
; IeeeMode: 1
; LDSByteSize: 0 bytes/workgroup (compile time only)
; SGPRBlocks: 5
; VGPRBlocks: 8
; NumSGPRsForWavesPerEU: 45
; NumVGPRsForWavesPerEU: 33
; Occupancy: 7
; WaveLimiterHint : 0
; COMPUTE_PGM_RSRC2:SCRATCH_EN: 0
; COMPUTE_PGM_RSRC2:USER_SGPR: 6
; COMPUTE_PGM_RSRC2:TRAP_HANDLER: 0
; COMPUTE_PGM_RSRC2:TGID_X_EN: 1
; COMPUTE_PGM_RSRC2:TGID_Y_EN: 0
; COMPUTE_PGM_RSRC2:TGID_Z_EN: 0
; COMPUTE_PGM_RSRC2:TIDIG_COMP_CNT: 0
	.type	__hip_cuid_b6d12f251231546c,@object ; @__hip_cuid_b6d12f251231546c
	.section	.bss,"aw",@nobits
	.globl	__hip_cuid_b6d12f251231546c
__hip_cuid_b6d12f251231546c:
	.byte	0                               ; 0x0
	.size	__hip_cuid_b6d12f251231546c, 1

	.ident	"AMD clang version 19.0.0git (https://github.com/RadeonOpenCompute/llvm-project roc-6.4.0 25133 c7fe45cf4b819c5991fe208aaa96edf142730f1d)"
	.section	".note.GNU-stack","",@progbits
	.addrsig
	.addrsig_sym __hip_cuid_b6d12f251231546c
	.amdgpu_metadata
---
amdhsa.kernels:
  - .args:
      - .actual_access:  read_only
        .address_space:  global
        .offset:         0
        .size:           8
        .value_kind:     global_buffer
      - .address_space:  global
        .offset:         8
        .size:           8
        .value_kind:     global_buffer
      - .offset:         16
        .size:           8
        .value_kind:     by_value
      - .actual_access:  read_only
        .address_space:  global
        .offset:         24
        .size:           8
        .value_kind:     global_buffer
      - .actual_access:  read_only
        .address_space:  global
        .offset:         32
        .size:           8
        .value_kind:     global_buffer
      - .offset:         40
        .size:           8
        .value_kind:     by_value
      - .actual_access:  read_only
        .address_space:  global
        .offset:         48
        .size:           8
        .value_kind:     global_buffer
      - .actual_access:  read_only
        .address_space:  global
        .offset:         56
        .size:           8
        .value_kind:     global_buffer
      - .offset:         64
        .size:           4
        .value_kind:     by_value
      - .actual_access:  read_only
        .address_space:  global
        .offset:         72
        .size:           8
        .value_kind:     global_buffer
      - .actual_access:  read_only
        .address_space:  global
        .offset:         80
        .size:           8
        .value_kind:     global_buffer
      - .address_space:  global
        .offset:         88
        .size:           8
        .value_kind:     global_buffer
    .group_segment_fixed_size: 0
    .kernarg_segment_align: 8
    .kernarg_segment_size: 96
    .language:       OpenCL C
    .language_version:
      - 2
      - 0
    .max_flat_workgroup_size: 245
    .name:           fft_rtc_fwd_len343_factors_7_7_7_wgs_245_tpt_49_sp_ip_CI_sbcc_twdbase5_3step_dirReg_intrinsicReadWrite
    .private_segment_fixed_size: 0
    .sgpr_count:     45
    .sgpr_spill_count: 0
    .symbol:         fft_rtc_fwd_len343_factors_7_7_7_wgs_245_tpt_49_sp_ip_CI_sbcc_twdbase5_3step_dirReg_intrinsicReadWrite.kd
    .uniform_work_group_size: 1
    .uses_dynamic_stack: false
    .vgpr_count:     33
    .vgpr_spill_count: 0
    .wavefront_size: 64
amdhsa.target:   amdgcn-amd-amdhsa--gfx906
amdhsa.version:
  - 1
  - 2
...

	.end_amdgpu_metadata
